;; amdgpu-corpus repo=ROCm/rocFFT kind=compiled arch=gfx1030 opt=O3
	.text
	.amdgcn_target "amdgcn-amd-amdhsa--gfx1030"
	.amdhsa_code_object_version 6
	.protected	fft_rtc_fwd_len96_factors_6_16_wgs_128_tpt_16_dp_op_CI_CI_unitstride_sbrr_dirReg ; -- Begin function fft_rtc_fwd_len96_factors_6_16_wgs_128_tpt_16_dp_op_CI_CI_unitstride_sbrr_dirReg
	.globl	fft_rtc_fwd_len96_factors_6_16_wgs_128_tpt_16_dp_op_CI_CI_unitstride_sbrr_dirReg
	.p2align	8
	.type	fft_rtc_fwd_len96_factors_6_16_wgs_128_tpt_16_dp_op_CI_CI_unitstride_sbrr_dirReg,@function
fft_rtc_fwd_len96_factors_6_16_wgs_128_tpt_16_dp_op_CI_CI_unitstride_sbrr_dirReg: ; @fft_rtc_fwd_len96_factors_6_16_wgs_128_tpt_16_dp_op_CI_CI_unitstride_sbrr_dirReg
; %bb.0:
	s_clause 0x2
	s_load_dwordx4 s[12:15], s[4:5], 0x0
	s_load_dwordx4 s[8:11], s[4:5], 0x58
	;; [unrolled: 1-line block ×3, first 2 shown]
	v_lshrrev_b32_e32 v7, 4, v0
	v_mov_b32_e32 v3, 0
	v_mov_b32_e32 v1, 0
	;; [unrolled: 1-line block ×3, first 2 shown]
	v_lshl_or_b32 v5, s6, 3, v7
	v_mov_b32_e32 v6, v3
	s_waitcnt lgkmcnt(0)
	v_cmp_lt_u64_e64 s0, s[14:15], 2
	s_and_b32 vcc_lo, exec_lo, s0
	s_cbranch_vccnz .LBB0_8
; %bb.1:
	s_load_dwordx2 s[0:1], s[4:5], 0x10
	v_mov_b32_e32 v1, 0
	v_mov_b32_e32 v2, 0
	s_add_u32 s2, s18, 8
	s_addc_u32 s3, s19, 0
	s_add_u32 s6, s16, 8
	s_addc_u32 s7, s17, 0
	v_mov_b32_e32 v65, v2
	v_mov_b32_e32 v64, v1
	s_mov_b64 s[22:23], 1
	s_waitcnt lgkmcnt(0)
	s_add_u32 s20, s0, 8
	s_addc_u32 s21, s1, 0
.LBB0_2:                                ; =>This Inner Loop Header: Depth=1
	s_load_dwordx2 s[24:25], s[20:21], 0x0
                                        ; implicit-def: $vgpr66_vgpr67
	s_mov_b32 s0, exec_lo
	s_waitcnt lgkmcnt(0)
	v_or_b32_e32 v4, s25, v6
	v_cmpx_ne_u64_e32 0, v[3:4]
	s_xor_b32 s1, exec_lo, s0
	s_cbranch_execz .LBB0_4
; %bb.3:                                ;   in Loop: Header=BB0_2 Depth=1
	v_cvt_f32_u32_e32 v4, s24
	v_cvt_f32_u32_e32 v8, s25
	s_sub_u32 s0, 0, s24
	s_subb_u32 s26, 0, s25
	v_fmac_f32_e32 v4, 0x4f800000, v8
	v_rcp_f32_e32 v4, v4
	v_mul_f32_e32 v4, 0x5f7ffffc, v4
	v_mul_f32_e32 v8, 0x2f800000, v4
	v_trunc_f32_e32 v8, v8
	v_fmac_f32_e32 v4, 0xcf800000, v8
	v_cvt_u32_f32_e32 v8, v8
	v_cvt_u32_f32_e32 v4, v4
	v_mul_lo_u32 v9, s0, v8
	v_mul_hi_u32 v10, s0, v4
	v_mul_lo_u32 v11, s26, v4
	v_add_nc_u32_e32 v9, v10, v9
	v_mul_lo_u32 v10, s0, v4
	v_add_nc_u32_e32 v9, v9, v11
	v_mul_hi_u32 v11, v4, v10
	v_mul_lo_u32 v12, v4, v9
	v_mul_hi_u32 v13, v4, v9
	v_mul_hi_u32 v14, v8, v10
	v_mul_lo_u32 v10, v8, v10
	v_mul_hi_u32 v15, v8, v9
	v_mul_lo_u32 v9, v8, v9
	v_add_co_u32 v11, vcc_lo, v11, v12
	v_add_co_ci_u32_e32 v12, vcc_lo, 0, v13, vcc_lo
	v_add_co_u32 v10, vcc_lo, v11, v10
	v_add_co_ci_u32_e32 v10, vcc_lo, v12, v14, vcc_lo
	v_add_co_ci_u32_e32 v11, vcc_lo, 0, v15, vcc_lo
	v_add_co_u32 v9, vcc_lo, v10, v9
	v_add_co_ci_u32_e32 v10, vcc_lo, 0, v11, vcc_lo
	v_add_co_u32 v4, vcc_lo, v4, v9
	v_add_co_ci_u32_e32 v8, vcc_lo, v8, v10, vcc_lo
	v_mul_hi_u32 v9, s0, v4
	v_mul_lo_u32 v11, s26, v4
	v_mul_lo_u32 v10, s0, v8
	v_add_nc_u32_e32 v9, v9, v10
	v_mul_lo_u32 v10, s0, v4
	v_add_nc_u32_e32 v9, v9, v11
	v_mul_hi_u32 v11, v4, v10
	v_mul_lo_u32 v12, v4, v9
	v_mul_hi_u32 v13, v4, v9
	v_mul_hi_u32 v14, v8, v10
	v_mul_lo_u32 v10, v8, v10
	v_mul_hi_u32 v15, v8, v9
	v_mul_lo_u32 v9, v8, v9
	v_add_co_u32 v11, vcc_lo, v11, v12
	v_add_co_ci_u32_e32 v12, vcc_lo, 0, v13, vcc_lo
	v_add_co_u32 v10, vcc_lo, v11, v10
	v_add_co_ci_u32_e32 v10, vcc_lo, v12, v14, vcc_lo
	v_add_co_ci_u32_e32 v11, vcc_lo, 0, v15, vcc_lo
	v_add_co_u32 v9, vcc_lo, v10, v9
	v_add_co_ci_u32_e32 v10, vcc_lo, 0, v11, vcc_lo
	v_add_co_u32 v4, vcc_lo, v4, v9
	v_add_co_ci_u32_e32 v12, vcc_lo, v8, v10, vcc_lo
	v_mul_hi_u32 v14, v5, v4
	v_mad_u64_u32 v[10:11], null, v6, v4, 0
	v_mad_u64_u32 v[8:9], null, v5, v12, 0
	;; [unrolled: 1-line block ×3, first 2 shown]
	v_add_co_u32 v4, vcc_lo, v14, v8
	v_add_co_ci_u32_e32 v8, vcc_lo, 0, v9, vcc_lo
	v_add_co_u32 v4, vcc_lo, v4, v10
	v_add_co_ci_u32_e32 v4, vcc_lo, v8, v11, vcc_lo
	v_add_co_ci_u32_e32 v8, vcc_lo, 0, v13, vcc_lo
	v_add_co_u32 v4, vcc_lo, v4, v12
	v_add_co_ci_u32_e32 v10, vcc_lo, 0, v8, vcc_lo
	v_mul_lo_u32 v11, s25, v4
	v_mad_u64_u32 v[8:9], null, s24, v4, 0
	v_mul_lo_u32 v12, s24, v10
	v_sub_co_u32 v8, vcc_lo, v5, v8
	v_add3_u32 v9, v9, v12, v11
	v_sub_nc_u32_e32 v11, v6, v9
	v_subrev_co_ci_u32_e64 v11, s0, s25, v11, vcc_lo
	v_add_co_u32 v12, s0, v4, 2
	v_add_co_ci_u32_e64 v13, s0, 0, v10, s0
	v_sub_co_u32 v14, s0, v8, s24
	v_sub_co_ci_u32_e32 v9, vcc_lo, v6, v9, vcc_lo
	v_subrev_co_ci_u32_e64 v11, s0, 0, v11, s0
	v_cmp_le_u32_e32 vcc_lo, s24, v14
	v_cmp_eq_u32_e64 s0, s25, v9
	v_cndmask_b32_e64 v14, 0, -1, vcc_lo
	v_cmp_le_u32_e32 vcc_lo, s25, v11
	v_cndmask_b32_e64 v15, 0, -1, vcc_lo
	v_cmp_le_u32_e32 vcc_lo, s24, v8
	;; [unrolled: 2-line block ×3, first 2 shown]
	v_cndmask_b32_e64 v16, 0, -1, vcc_lo
	v_cmp_eq_u32_e32 vcc_lo, s25, v11
	v_cndmask_b32_e64 v8, v16, v8, s0
	v_cndmask_b32_e32 v11, v15, v14, vcc_lo
	v_add_co_u32 v14, vcc_lo, v4, 1
	v_add_co_ci_u32_e32 v15, vcc_lo, 0, v10, vcc_lo
	v_cmp_ne_u32_e32 vcc_lo, 0, v11
	v_cndmask_b32_e32 v9, v15, v13, vcc_lo
	v_cndmask_b32_e32 v11, v14, v12, vcc_lo
	v_cmp_ne_u32_e32 vcc_lo, 0, v8
	v_cndmask_b32_e32 v67, v10, v9, vcc_lo
	v_cndmask_b32_e32 v66, v4, v11, vcc_lo
.LBB0_4:                                ;   in Loop: Header=BB0_2 Depth=1
	s_andn2_saveexec_b32 s0, s1
	s_cbranch_execz .LBB0_6
; %bb.5:                                ;   in Loop: Header=BB0_2 Depth=1
	v_cvt_f32_u32_e32 v4, s24
	s_sub_i32 s1, 0, s24
	v_mov_b32_e32 v67, v3
	v_rcp_iflag_f32_e32 v4, v4
	v_mul_f32_e32 v4, 0x4f7ffffe, v4
	v_cvt_u32_f32_e32 v4, v4
	v_mul_lo_u32 v8, s1, v4
	v_mul_hi_u32 v8, v4, v8
	v_add_nc_u32_e32 v4, v4, v8
	v_mul_hi_u32 v4, v5, v4
	v_mul_lo_u32 v8, v4, s24
	v_add_nc_u32_e32 v9, 1, v4
	v_sub_nc_u32_e32 v8, v5, v8
	v_subrev_nc_u32_e32 v10, s24, v8
	v_cmp_le_u32_e32 vcc_lo, s24, v8
	v_cndmask_b32_e32 v8, v8, v10, vcc_lo
	v_cndmask_b32_e32 v4, v4, v9, vcc_lo
	v_cmp_le_u32_e32 vcc_lo, s24, v8
	v_add_nc_u32_e32 v9, 1, v4
	v_cndmask_b32_e32 v66, v4, v9, vcc_lo
.LBB0_6:                                ;   in Loop: Header=BB0_2 Depth=1
	s_or_b32 exec_lo, exec_lo, s0
	v_mul_lo_u32 v4, v67, s24
	v_mul_lo_u32 v10, v66, s25
	s_load_dwordx2 s[0:1], s[6:7], 0x0
	v_mad_u64_u32 v[8:9], null, v66, s24, 0
	s_load_dwordx2 s[24:25], s[2:3], 0x0
	s_add_u32 s22, s22, 1
	s_addc_u32 s23, s23, 0
	s_add_u32 s2, s2, 8
	s_addc_u32 s3, s3, 0
	s_add_u32 s6, s6, 8
	v_add3_u32 v4, v9, v10, v4
	v_sub_co_u32 v5, vcc_lo, v5, v8
	s_addc_u32 s7, s7, 0
	s_add_u32 s20, s20, 8
	v_sub_co_ci_u32_e32 v4, vcc_lo, v6, v4, vcc_lo
	s_addc_u32 s21, s21, 0
	s_waitcnt lgkmcnt(0)
	v_mul_lo_u32 v6, s0, v4
	v_mul_lo_u32 v8, s1, v5
	v_mad_u64_u32 v[1:2], null, s0, v5, v[1:2]
	v_mul_lo_u32 v4, s24, v4
	v_mul_lo_u32 v9, s25, v5
	v_mad_u64_u32 v[64:65], null, s24, v5, v[64:65]
	v_cmp_ge_u64_e64 s0, s[22:23], s[14:15]
	v_add3_u32 v2, v8, v2, v6
	v_add3_u32 v65, v9, v65, v4
	s_and_b32 vcc_lo, exec_lo, s0
	s_cbranch_vccnz .LBB0_9
; %bb.7:                                ;   in Loop: Header=BB0_2 Depth=1
	v_mov_b32_e32 v5, v66
	v_mov_b32_e32 v6, v67
	s_branch .LBB0_2
.LBB0_8:
	v_mov_b32_e32 v65, v2
	v_mov_b32_e32 v67, v6
	;; [unrolled: 1-line block ×4, first 2 shown]
.LBB0_9:
	s_load_dwordx2 s[0:1], s[4:5], 0x28
	s_lshl_b64 s[4:5], s[14:15], 3
	v_and_b32_e32 v68, 15, v0
	s_add_u32 s2, s18, s4
	s_addc_u32 s3, s19, s5
	s_waitcnt lgkmcnt(0)
	v_cmp_gt_u64_e32 vcc_lo, s[0:1], v[66:67]
	v_cmp_le_u64_e64 s0, s[0:1], v[66:67]
	s_and_saveexec_b32 s1, s0
	s_xor_b32 s0, exec_lo, s1
; %bb.10:
	v_and_b32_e32 v68, 15, v0
                                        ; implicit-def: $vgpr1_vgpr2
; %bb.11:
	s_or_saveexec_b32 s1, s0
	v_mul_u32_u24_e32 v3, 0x60, v7
	v_lshlrev_b32_e32 v0, 4, v3
	s_xor_b32 exec_lo, exec_lo, s1
	s_cbranch_execz .LBB0_13
; %bb.12:
	s_add_u32 s4, s16, s4
	s_addc_u32 s5, s17, s5
	v_lshlrev_b64 v[1:2], 4, v[1:2]
	s_load_dwordx2 s[4:5], s[4:5], 0x0
	v_lshlrev_b32_e32 v28, 4, v68
	s_waitcnt lgkmcnt(0)
	v_mul_lo_u32 v6, s5, v66
	v_mul_lo_u32 v7, s4, v67
	v_mad_u64_u32 v[4:5], null, s4, v66, 0
	v_add3_u32 v5, v5, v7, v6
	v_lshlrev_b64 v[4:5], 4, v[4:5]
	v_add_co_u32 v4, s0, s8, v4
	v_add_co_ci_u32_e64 v5, s0, s9, v5, s0
	v_add_co_u32 v1, s0, v4, v1
	v_add_co_ci_u32_e64 v2, s0, v5, v2, s0
	;; [unrolled: 2-line block ×3, first 2 shown]
	s_clause 0x5
	global_load_dwordx4 v[4:7], v[1:2], off
	global_load_dwordx4 v[8:11], v[1:2], off offset:256
	global_load_dwordx4 v[12:15], v[1:2], off offset:512
	global_load_dwordx4 v[16:19], v[1:2], off offset:768
	global_load_dwordx4 v[20:23], v[1:2], off offset:1024
	global_load_dwordx4 v[24:27], v[1:2], off offset:1280
	v_or_b32_e32 v1, v3, v68
	v_add_nc_u32_e32 v2, v3, v68
	v_add3_u32 v3, 0, v0, v28
	v_lshl_add_u32 v1, v1, 4, 0
	v_lshl_add_u32 v2, v2, 4, 0
	s_waitcnt vmcnt(5)
	ds_write_b128 v1, v[4:7]
	s_waitcnt vmcnt(4)
	ds_write_b128 v2, v[8:11] offset:256
	s_waitcnt vmcnt(3)
	ds_write_b128 v3, v[12:15] offset:512
	;; [unrolled: 2-line block ×5, first 2 shown]
.LBB0_13:
	s_or_b32 exec_lo, exec_lo, s1
	v_lshlrev_b32_e32 v21, 4, v68
	s_load_dwordx2 s[2:3], s[2:3], 0x0
	s_waitcnt lgkmcnt(0)
	s_barrier
	buffer_gl0_inv
	v_add3_u32 v69, 0, v21, v0
	v_add_nc_u32_e32 v70, 0, v0
	s_mov_b32 s0, 0xe8584caa
	s_mov_b32 s1, 0x3febb67a
	;; [unrolled: 1-line block ×3, first 2 shown]
	ds_read_b128 v[1:4], v69 offset:1280
	ds_read_b128 v[5:8], v69 offset:768
	;; [unrolled: 1-line block ×5, first 2 shown]
	v_add_nc_u32_e32 v71, v70, v21
	s_mov_b32 s4, s0
                                        ; implicit-def: $vgpr58_vgpr59
                                        ; implicit-def: $vgpr46_vgpr47
                                        ; implicit-def: $vgpr62_vgpr63
                                        ; implicit-def: $vgpr54_vgpr55
                                        ; implicit-def: $vgpr50_vgpr51
	ds_read_b128 v[21:24], v71
	s_waitcnt lgkmcnt(0)
	s_barrier
	buffer_gl0_inv
	v_add_f64 v[25:26], v[7:8], v[3:4]
	v_add_f64 v[27:28], v[5:6], v[1:2]
	v_add_f64 v[29:30], v[7:8], -v[3:4]
	v_add_f64 v[31:32], v[5:6], -v[1:2]
	v_add_f64 v[33:34], v[9:10], v[13:14]
	v_add_f64 v[35:36], v[11:12], v[15:16]
	;; [unrolled: 1-line block ×4, first 2 shown]
	v_fma_f64 v[25:26], v[25:26], -0.5, v[19:20]
	v_fma_f64 v[27:28], v[27:28], -0.5, v[17:18]
	;; [unrolled: 1-line block ×4, first 2 shown]
	v_add_f64 v[5:6], v[5:6], v[1:2]
	v_add_f64 v[7:8], v[7:8], v[3:4]
	v_fma_f64 v[37:38], v[31:32], s[4:5], v[25:26]
	v_fma_f64 v[39:40], v[29:30], s[4:5], v[27:28]
	;; [unrolled: 1-line block ×4, first 2 shown]
	v_add_f64 v[29:30], v[21:22], v[9:10]
	v_add_f64 v[31:32], v[11:12], -v[15:16]
	v_add_f64 v[11:12], v[23:24], v[11:12]
	v_add_f64 v[9:10], v[9:10], -v[13:14]
	v_mul_f64 v[21:22], v[37:38], s[0:1]
	v_mul_f64 v[23:24], v[39:40], -0.5
	v_mul_f64 v[33:34], v[27:28], s[4:5]
	v_mul_f64 v[35:36], v[25:26], -0.5
	v_add_f64 v[13:14], v[29:30], v[13:14]
	v_fma_f64 v[29:30], v[31:32], s[0:1], v[17:18]
	v_add_f64 v[11:12], v[11:12], v[15:16]
	v_fma_f64 v[31:32], v[31:32], s[4:5], v[17:18]
	v_fma_f64 v[41:42], v[9:10], s[4:5], v[19:20]
	;; [unrolled: 1-line block ×3, first 2 shown]
	v_fma_f64 v[9:10], v[27:28], 0.5, v[21:22]
	v_fma_f64 v[20:21], v[25:26], s[0:1], v[23:24]
	v_fma_f64 v[22:23], v[37:38], 0.5, v[33:34]
	v_fma_f64 v[33:34], v[39:40], s[4:5], v[35:36]
	v_add_f64 v[0:1], v[13:14], v[5:6]
	v_add_f64 v[16:17], v[13:14], -v[5:6]
	v_add_f64 v[2:3], v[11:12], v[7:8]
	v_add_f64 v[18:19], v[11:12], -v[7:8]
	v_cmp_gt_u32_e64 s0, 6, v68
                                        ; implicit-def: $vgpr38_vgpr39
	v_add_f64 v[4:5], v[29:30], v[9:10]
	v_add_f64 v[24:25], v[31:32], v[20:21]
	;; [unrolled: 1-line block ×4, first 2 shown]
	v_add_f64 v[8:9], v[29:30], -v[9:10]
	v_add_f64 v[12:13], v[31:32], -v[20:21]
	;; [unrolled: 1-line block ×4, first 2 shown]
	v_mad_u32_u24 v20, 0x50, v68, v69
                                        ; implicit-def: $vgpr30_vgpr31
                                        ; implicit-def: $vgpr22_vgpr23
                                        ; implicit-def: $vgpr42_vgpr43
                                        ; implicit-def: $vgpr34_vgpr35
	ds_write_b128 v20, v[0:3]
	ds_write_b128 v20, v[16:19] offset:48
	ds_write_b128 v20, v[4:7] offset:16
	;; [unrolled: 1-line block ×5, first 2 shown]
	s_waitcnt lgkmcnt(0)
	s_barrier
	buffer_gl0_inv
	s_and_saveexec_b32 s1, s0
	s_cbranch_execz .LBB0_15
; %bb.14:
	ds_read_b128 v[0:3], v71
	ds_read_b128 v[4:7], v69 offset:96
	ds_read_b128 v[24:27], v69 offset:192
	;; [unrolled: 1-line block ×15, first 2 shown]
.LBB0_15:
	s_or_b32 exec_lo, exec_lo, s1
	s_waitcnt lgkmcnt(0)
	s_barrier
	buffer_gl0_inv
	s_and_saveexec_b32 s8, s0
	s_cbranch_execz .LBB0_17
; %bb.16:
	v_and_b32_e32 v72, 0xff, v68
	v_mov_b32_e32 v73, 4
	s_mov_b32 s0, 0x667f3bcd
	s_mov_b32 s1, 0x3fe6a09e
	;; [unrolled: 1-line block ×3, first 2 shown]
	v_mul_lo_u16 v72, 0xab, v72
	s_mov_b32 s4, s0
	s_mov_b32 s6, 0xcf328d46
	;; [unrolled: 1-line block ×4, first 2 shown]
	v_lshrrev_b16 v72, 10, v72
	s_mov_b32 s17, 0xbfed906b
	s_mov_b32 s16, s6
	v_mul_lo_u16 v72, v72, 6
	v_sub_nc_u16 v72, v68, v72
	v_mul_lo_u16 v72, v72, 15
	v_lshlrev_b32_sdwa v106, v73, v72 dst_sel:DWORD dst_unused:UNUSED_PAD src0_sel:DWORD src1_sel:BYTE_0
	s_clause 0x3
	global_load_dwordx4 v[72:75], v106, s[12:13] offset:16
	global_load_dwordx4 v[76:79], v106, s[12:13] offset:144
	;; [unrolled: 1-line block ×3, first 2 shown]
	global_load_dwordx4 v[84:87], v106, s[12:13]
	s_waitcnt vmcnt(3)
	v_mul_f64 v[88:89], v[26:27], v[74:75]
	v_mul_f64 v[74:75], v[24:25], v[74:75]
	v_fma_f64 v[88:89], v[24:25], v[72:73], -v[88:89]
	v_fma_f64 v[90:91], v[26:27], v[72:73], v[74:75]
	s_waitcnt vmcnt(2)
	v_mul_f64 v[72:73], v[58:59], v[78:79]
	v_mul_f64 v[74:75], v[56:57], v[78:79]
	global_load_dwordx4 v[24:27], v106, s[12:13] offset:128
	v_fma_f64 v[78:79], v[56:57], v[76:77], -v[72:73]
	v_fma_f64 v[76:77], v[58:59], v[76:77], v[74:75]
	global_load_dwordx4 v[56:59], v106, s[12:13] offset:64
	s_waitcnt vmcnt(3)
	v_mul_f64 v[72:73], v[48:49], v[82:83]
	v_mul_f64 v[74:75], v[50:51], v[82:83]
	v_fma_f64 v[82:83], v[50:51], v[80:81], v[72:73]
	v_fma_f64 v[80:81], v[48:49], v[80:81], -v[74:75]
	s_clause 0x1
	global_load_dwordx4 v[48:51], v106, s[12:13] offset:208
	global_load_dwordx4 v[72:75], v106, s[12:13] offset:192
	s_waitcnt vmcnt(1)
	v_mul_f64 v[92:93], v[60:61], v[50:51]
	v_mul_f64 v[50:51], v[62:63], v[50:51]
	v_fma_f64 v[92:93], v[62:63], v[48:49], v[92:93]
	v_fma_f64 v[94:95], v[60:61], v[48:49], -v[50:51]
	s_clause 0x1
	global_load_dwordx4 v[48:51], v106, s[12:13] offset:32
	global_load_dwordx4 v[60:63], v106, s[12:13] offset:48
	s_waitcnt vmcnt(1)
	v_mul_f64 v[96:97], v[18:19], v[50:51]
	v_fma_f64 v[96:97], v[16:17], v[48:49], -v[96:97]
	v_mul_f64 v[16:17], v[16:17], v[50:51]
	v_fma_f64 v[98:99], v[18:19], v[48:49], v[16:17]
	s_clause 0x1
	global_load_dwordx4 v[16:19], v106, s[12:13] offset:160
	global_load_dwordx4 v[48:51], v106, s[12:13] offset:176
	s_waitcnt vmcnt(1)
	v_mul_f64 v[100:101], v[46:47], v[18:19]
	v_mul_f64 v[18:19], v[44:45], v[18:19]
	v_fma_f64 v[100:101], v[44:45], v[16:17], -v[100:101]
	v_fma_f64 v[102:103], v[46:47], v[16:17], v[18:19]
	s_clause 0x1
	global_load_dwordx4 v[16:19], v106, s[12:13] offset:96
	global_load_dwordx4 v[44:47], v106, s[12:13] offset:112
	s_waitcnt vmcnt(1)
	v_mul_f64 v[104:105], v[28:29], v[18:19]
	v_mul_f64 v[18:19], v[30:31], v[18:19]
	v_fma_f64 v[104:105], v[30:31], v[16:17], v[104:105]
	v_fma_f64 v[28:29], v[28:29], v[16:17], -v[18:19]
	global_load_dwordx4 v[16:19], v106, s[12:13] offset:224
	s_mov_b32 s12, 0xa6aea964
	s_mov_b32 s13, 0x3fd87de2
	;; [unrolled: 1-line block ×3, first 2 shown]
	s_waitcnt vmcnt(0)
	v_mul_f64 v[30:31], v[52:53], v[18:19]
	v_mul_f64 v[18:19], v[54:55], v[18:19]
	v_fma_f64 v[30:31], v[54:55], v[16:17], v[30:31]
	v_fma_f64 v[16:17], v[52:53], v[16:17], -v[18:19]
	v_mul_f64 v[18:19], v[6:7], v[86:87]
	v_mul_f64 v[52:53], v[38:39], v[50:51]
	;; [unrolled: 1-line block ×3, first 2 shown]
	v_add_f64 v[30:31], v[104:105], -v[30:31]
	v_add_f64 v[16:17], v[28:29], -v[16:17]
	v_fma_f64 v[18:19], v[4:5], v[84:85], -v[18:19]
	v_mul_f64 v[4:5], v[4:5], v[86:87]
	v_fma_f64 v[28:29], v[28:29], 2.0, -v[16:17]
	v_fma_f64 v[4:5], v[6:7], v[84:85], v[4:5]
	v_mul_f64 v[6:7], v[34:35], v[26:27]
	v_mul_f64 v[26:27], v[32:33], v[26:27]
	v_fma_f64 v[6:7], v[32:33], v[24:25], -v[6:7]
	v_fma_f64 v[24:25], v[34:35], v[24:25], v[26:27]
	v_mul_f64 v[26:27], v[12:13], v[58:59]
	v_mul_f64 v[32:33], v[14:15], v[58:59]
	;; [unrolled: 1-line block ×3, first 2 shown]
	v_add_f64 v[6:7], v[18:19], -v[6:7]
	v_add_f64 v[24:25], v[4:5], -v[24:25]
	v_fma_f64 v[14:15], v[14:15], v[56:57], v[26:27]
	v_fma_f64 v[12:13], v[12:13], v[56:57], -v[32:33]
	v_mul_f64 v[26:27], v[40:41], v[74:75]
	v_mul_f64 v[32:33], v[42:43], v[74:75]
	v_fma_f64 v[18:19], v[18:19], 2.0, -v[6:7]
	v_fma_f64 v[4:5], v[4:5], 2.0, -v[24:25]
	v_fma_f64 v[26:27], v[42:43], v[72:73], v[26:27]
	v_fma_f64 v[32:33], v[40:41], v[72:73], -v[32:33]
	v_mul_f64 v[40:41], v[20:21], v[46:47]
	v_mul_f64 v[42:43], v[8:9], v[62:63]
	;; [unrolled: 1-line block ×3, first 2 shown]
	v_fma_f64 v[8:9], v[8:9], v[60:61], -v[34:35]
	v_fma_f64 v[34:35], v[36:37], v[48:49], -v[52:53]
	v_fma_f64 v[36:37], v[38:39], v[48:49], v[50:51]
	v_add_f64 v[38:39], v[88:89], -v[78:79]
	v_add_f64 v[48:49], v[98:99], -v[102:103]
	;; [unrolled: 1-line block ×4, first 2 shown]
	v_fma_f64 v[22:23], v[22:23], v[44:45], v[40:41]
	v_fma_f64 v[10:11], v[10:11], v[60:61], v[42:43]
	v_fma_f64 v[20:21], v[20:21], v[44:45], -v[46:47]
	v_add_f64 v[40:41], v[82:83], -v[92:93]
	v_add_f64 v[42:43], v[90:91], -v[76:77]
	;; [unrolled: 1-line block ×5, first 2 shown]
	v_add_f64 v[16:17], v[48:49], v[16:17]
	v_fma_f64 v[60:61], v[88:89], 2.0, -v[38:39]
	v_fma_f64 v[62:63], v[98:99], 2.0, -v[48:49]
	v_add_f64 v[56:57], v[6:7], -v[26:27]
	v_fma_f64 v[12:13], v[12:13], 2.0, -v[32:33]
	v_add_f64 v[22:23], v[2:3], -v[22:23]
	v_add_f64 v[36:37], v[10:11], -v[36:37]
	;; [unrolled: 1-line block ×4, first 2 shown]
	v_add_f64 v[32:33], v[24:25], v[32:33]
	v_add_f64 v[52:53], v[42:43], v[44:45]
	v_fma_f64 v[44:45], v[80:81], 2.0, -v[44:45]
	v_add_f64 v[58:59], v[46:47], -v[30:31]
	v_fma_f64 v[30:31], v[104:105], 2.0, -v[30:31]
	v_fma_f64 v[72:73], v[96:97], 2.0, -v[46:47]
	;; [unrolled: 1-line block ×7, first 2 shown]
	v_add_f64 v[12:13], v[18:19], -v[12:13]
	v_add_f64 v[54:55], v[22:23], v[34:35]
	v_fma_f64 v[10:11], v[10:11], 2.0, -v[36:37]
	v_add_f64 v[36:37], v[20:21], -v[36:37]
	v_fma_f64 v[2:3], v[2:3], 2.0, -v[22:23]
	v_fma_f64 v[0:1], v[0:1], 2.0, -v[20:21]
	;; [unrolled: 1-line block ×7, first 2 shown]
	v_add_f64 v[28:29], v[72:73], -v[28:29]
	v_add_f64 v[44:45], v[60:61], -v[44:45]
	;; [unrolled: 1-line block ×5, first 2 shown]
	v_fma_f64 v[76:77], v[16:17], s[0:1], v[32:33]
	v_fma_f64 v[74:75], v[58:59], s[0:1], v[56:57]
	v_fma_f64 v[18:19], v[18:19], 2.0, -v[12:13]
	v_fma_f64 v[22:23], v[22:23], 2.0, -v[54:55]
	v_fma_f64 v[48:49], v[52:53], s[0:1], v[54:55]
	v_fma_f64 v[20:21], v[20:21], 2.0, -v[36:37]
	v_add_f64 v[10:11], v[2:3], -v[10:11]
	v_add_f64 v[8:9], v[0:1], -v[8:9]
	v_fma_f64 v[78:79], v[50:51], s[0:1], v[36:37]
	v_fma_f64 v[82:83], v[42:43], s[4:5], v[6:7]
	;; [unrolled: 1-line block ×3, first 2 shown]
	v_fma_f64 v[72:73], v[72:73], 2.0, -v[28:29]
	v_fma_f64 v[60:61], v[60:61], 2.0, -v[44:45]
	;; [unrolled: 1-line block ×5, first 2 shown]
	v_add_f64 v[30:31], v[12:13], -v[30:31]
	v_add_f64 v[28:29], v[14:15], v[28:29]
	v_fma_f64 v[16:17], v[16:17], s[4:5], v[74:75]
	v_fma_f64 v[80:81], v[34:35], s[4:5], v[22:23]
	;; [unrolled: 1-line block ×4, first 2 shown]
	v_fma_f64 v[2:3], v[2:3], 2.0, -v[10:11]
	v_fma_f64 v[0:1], v[0:1], 2.0, -v[8:9]
	v_fma_f64 v[50:51], v[58:59], s[0:1], v[76:77]
	v_fma_f64 v[52:53], v[52:53], s[4:5], v[78:79]
	v_add_f64 v[44:45], v[10:11], v[44:45]
	v_add_f64 v[58:59], v[8:9], -v[40:41]
	v_fma_f64 v[40:41], v[42:43], s[0:1], v[84:85]
	v_fma_f64 v[12:13], v[12:13], 2.0, -v[30:31]
	v_fma_f64 v[56:57], v[56:57], 2.0, -v[16:17]
	v_fma_f64 v[74:75], v[38:39], s[0:1], v[80:81]
	v_fma_f64 v[38:39], v[46:47], s[4:5], v[82:83]
	;; [unrolled: 1-line block ×3, first 2 shown]
	v_add_f64 v[42:43], v[2:3], -v[26:27]
	v_add_f64 v[26:27], v[4:5], -v[62:63]
	;; [unrolled: 1-line block ×4, first 2 shown]
	v_fma_f64 v[54:55], v[54:55], 2.0, -v[48:49]
	v_fma_f64 v[32:33], v[32:33], 2.0, -v[50:51]
	;; [unrolled: 1-line block ×7, first 2 shown]
	v_fma_f64 v[8:9], v[28:29], s[0:1], v[44:45]
	v_fma_f64 v[14:15], v[16:17], s[6:7], v[52:53]
	v_fma_f64 v[78:79], v[22:23], 2.0, -v[74:75]
	v_fma_f64 v[80:81], v[6:7], 2.0, -v[38:39]
	;; [unrolled: 1-line block ×3, first 2 shown]
	v_fma_f64 v[20:21], v[30:31], s[0:1], v[58:59]
	v_fma_f64 v[6:7], v[50:51], s[6:7], v[48:49]
	v_fma_f64 v[86:87], v[2:3], 2.0, -v[42:43]
	v_fma_f64 v[24:25], v[4:5], 2.0, -v[26:27]
	;; [unrolled: 1-line block ×4, first 2 shown]
	v_fma_f64 v[18:19], v[40:41], s[12:13], v[74:75]
	v_fma_f64 v[22:23], v[32:33], s[14:15], v[54:55]
	;; [unrolled: 1-line block ×5, first 2 shown]
	v_add_f64 v[2:3], v[42:43], v[34:35]
	v_fma_f64 v[34:35], v[38:39], s[12:13], v[76:77]
	v_add_f64 v[0:1], v[46:47], -v[26:27]
	v_fma_f64 v[10:11], v[30:31], s[0:1], v[8:9]
	v_fma_f64 v[4:5], v[50:51], s[14:15], v[14:15]
	;; [unrolled: 1-line block ×6, first 2 shown]
	v_add_f64 v[26:27], v[86:87], -v[24:25]
	v_add_f64 v[24:25], v[88:89], -v[90:91]
	v_fma_f64 v[14:15], v[38:39], s[6:7], v[18:19]
	v_fma_f64 v[18:19], v[56:57], s[6:7], v[22:23]
	;; [unrolled: 1-line block ×5, first 2 shown]
	v_fma_f64 v[42:43], v[42:43], 2.0, -v[2:3]
	v_fma_f64 v[12:13], v[40:41], s[16:17], v[34:35]
	v_fma_f64 v[40:41], v[46:47], 2.0, -v[0:1]
	v_fma_f64 v[38:39], v[44:45], 2.0, -v[10:11]
	;; [unrolled: 1-line block ×3, first 2 shown]
	v_fma_f64 v[30:31], v[80:81], s[12:13], v[98:99]
	v_fma_f64 v[28:29], v[82:83], s[14:15], v[100:101]
	v_fma_f64 v[36:37], v[58:59], 2.0, -v[8:9]
	v_fma_f64 v[34:35], v[48:49], 2.0, -v[6:7]
	;; [unrolled: 1-line block ×12, first 2 shown]
	ds_write_b128 v69, v[0:3] offset:1152
	ds_write_b128 v69, v[8:11] offset:1344
	;; [unrolled: 1-line block ×9, first 2 shown]
	ds_write_b128 v71, v[56:59]
	ds_write_b128 v69, v[52:55] offset:192
	ds_write_b128 v69, v[48:51] offset:288
	;; [unrolled: 1-line block ×6, first 2 shown]
.LBB0_17:
	s_or_b32 exec_lo, exec_lo, s8
	s_waitcnt lgkmcnt(0)
	s_barrier
	buffer_gl0_inv
	s_and_saveexec_b32 s0, vcc_lo
	s_cbranch_execz .LBB0_19
; %bb.18:
	v_mul_lo_u32 v2, s3, v66
	v_mul_lo_u32 v3, s2, v67
	v_mad_u64_u32 v[0:1], null, s2, v66, 0
	v_lshl_add_u32 v18, v68, 4, v70
	v_mov_b32_e32 v69, 0
	v_lshlrev_b64 v[8:9], 4, v[64:65]
	v_add_nc_u32_e32 v12, 32, v68
	v_add_nc_u32_e32 v10, 16, v68
	;; [unrolled: 1-line block ×3, first 2 shown]
	v_add3_u32 v1, v1, v3, v2
	v_lshlrev_b64 v[14:15], 4, v[68:69]
	v_mov_b32_e32 v13, v69
	v_mov_b32_e32 v11, v69
	;; [unrolled: 1-line block ×3, first 2 shown]
	v_lshlrev_b64 v[16:17], 4, v[0:1]
	ds_read_b128 v[0:3], v18
	ds_read_b128 v[4:7], v18 offset:256
	v_lshlrev_b64 v[10:11], 4, v[10:11]
	v_lshlrev_b64 v[24:25], 4, v[24:25]
	v_add_co_u32 v16, vcc_lo, s10, v16
	v_add_co_ci_u32_e32 v17, vcc_lo, s11, v17, vcc_lo
	v_add_co_u32 v30, vcc_lo, v16, v8
	v_add_co_ci_u32_e32 v31, vcc_lo, v17, v9, vcc_lo
	v_lshlrev_b64 v[8:9], 4, v[12:13]
	v_add_co_u32 v12, vcc_lo, v30, v14
	v_add_co_ci_u32_e32 v13, vcc_lo, v31, v15, vcc_lo
	v_add_co_u32 v20, vcc_lo, v30, v10
	v_add_co_ci_u32_e32 v21, vcc_lo, v31, v11, vcc_lo
	s_waitcnt lgkmcnt(1)
	global_store_dwordx4 v[12:13], v[0:3], off
	v_add_nc_u32_e32 v12, 48, v68
	v_mov_b32_e32 v13, v69
	v_add_co_u32 v22, vcc_lo, v30, v8
	v_add_co_ci_u32_e32 v23, vcc_lo, v31, v9, vcc_lo
	ds_read_b128 v[0:3], v18 offset:512
	ds_read_b128 v[8:11], v18 offset:768
	v_lshlrev_b64 v[26:27], 4, v[12:13]
	ds_read_b128 v[12:15], v18 offset:1024
	ds_read_b128 v[16:19], v18 offset:1280
	v_add_nc_u32_e32 v68, 0x50, v68
	v_add_co_u32 v26, vcc_lo, v30, v26
	v_lshlrev_b64 v[28:29], 4, v[68:69]
	v_add_co_ci_u32_e32 v27, vcc_lo, v31, v27, vcc_lo
	v_add_co_u32 v24, vcc_lo, v30, v24
	v_add_co_ci_u32_e32 v25, vcc_lo, v31, v25, vcc_lo
	v_add_co_u32 v28, vcc_lo, v30, v28
	v_add_co_ci_u32_e32 v29, vcc_lo, v31, v29, vcc_lo
	s_waitcnt lgkmcnt(4)
	global_store_dwordx4 v[20:21], v[4:7], off
	s_waitcnt lgkmcnt(3)
	global_store_dwordx4 v[22:23], v[0:3], off
	;; [unrolled: 2-line block ×5, first 2 shown]
.LBB0_19:
	s_endpgm
	.section	.rodata,"a",@progbits
	.p2align	6, 0x0
	.amdhsa_kernel fft_rtc_fwd_len96_factors_6_16_wgs_128_tpt_16_dp_op_CI_CI_unitstride_sbrr_dirReg
		.amdhsa_group_segment_fixed_size 0
		.amdhsa_private_segment_fixed_size 0
		.amdhsa_kernarg_size 104
		.amdhsa_user_sgpr_count 6
		.amdhsa_user_sgpr_private_segment_buffer 1
		.amdhsa_user_sgpr_dispatch_ptr 0
		.amdhsa_user_sgpr_queue_ptr 0
		.amdhsa_user_sgpr_kernarg_segment_ptr 1
		.amdhsa_user_sgpr_dispatch_id 0
		.amdhsa_user_sgpr_flat_scratch_init 0
		.amdhsa_user_sgpr_private_segment_size 0
		.amdhsa_wavefront_size32 1
		.amdhsa_uses_dynamic_stack 0
		.amdhsa_system_sgpr_private_segment_wavefront_offset 0
		.amdhsa_system_sgpr_workgroup_id_x 1
		.amdhsa_system_sgpr_workgroup_id_y 0
		.amdhsa_system_sgpr_workgroup_id_z 0
		.amdhsa_system_sgpr_workgroup_info 0
		.amdhsa_system_vgpr_workitem_id 0
		.amdhsa_next_free_vgpr 107
		.amdhsa_next_free_sgpr 27
		.amdhsa_reserve_vcc 1
		.amdhsa_reserve_flat_scratch 0
		.amdhsa_float_round_mode_32 0
		.amdhsa_float_round_mode_16_64 0
		.amdhsa_float_denorm_mode_32 3
		.amdhsa_float_denorm_mode_16_64 3
		.amdhsa_dx10_clamp 1
		.amdhsa_ieee_mode 1
		.amdhsa_fp16_overflow 0
		.amdhsa_workgroup_processor_mode 1
		.amdhsa_memory_ordered 1
		.amdhsa_forward_progress 0
		.amdhsa_shared_vgpr_count 0
		.amdhsa_exception_fp_ieee_invalid_op 0
		.amdhsa_exception_fp_denorm_src 0
		.amdhsa_exception_fp_ieee_div_zero 0
		.amdhsa_exception_fp_ieee_overflow 0
		.amdhsa_exception_fp_ieee_underflow 0
		.amdhsa_exception_fp_ieee_inexact 0
		.amdhsa_exception_int_div_zero 0
	.end_amdhsa_kernel
	.text
.Lfunc_end0:
	.size	fft_rtc_fwd_len96_factors_6_16_wgs_128_tpt_16_dp_op_CI_CI_unitstride_sbrr_dirReg, .Lfunc_end0-fft_rtc_fwd_len96_factors_6_16_wgs_128_tpt_16_dp_op_CI_CI_unitstride_sbrr_dirReg
                                        ; -- End function
	.section	.AMDGPU.csdata,"",@progbits
; Kernel info:
; codeLenInByte = 4740
; NumSgprs: 29
; NumVgprs: 107
; ScratchSize: 0
; MemoryBound: 0
; FloatMode: 240
; IeeeMode: 1
; LDSByteSize: 0 bytes/workgroup (compile time only)
; SGPRBlocks: 3
; VGPRBlocks: 13
; NumSGPRsForWavesPerEU: 29
; NumVGPRsForWavesPerEU: 107
; Occupancy: 9
; WaveLimiterHint : 1
; COMPUTE_PGM_RSRC2:SCRATCH_EN: 0
; COMPUTE_PGM_RSRC2:USER_SGPR: 6
; COMPUTE_PGM_RSRC2:TRAP_HANDLER: 0
; COMPUTE_PGM_RSRC2:TGID_X_EN: 1
; COMPUTE_PGM_RSRC2:TGID_Y_EN: 0
; COMPUTE_PGM_RSRC2:TGID_Z_EN: 0
; COMPUTE_PGM_RSRC2:TIDIG_COMP_CNT: 0
	.text
	.p2alignl 6, 3214868480
	.fill 48, 4, 3214868480
	.type	__hip_cuid_47b5bcf188cb9b9a,@object ; @__hip_cuid_47b5bcf188cb9b9a
	.section	.bss,"aw",@nobits
	.globl	__hip_cuid_47b5bcf188cb9b9a
__hip_cuid_47b5bcf188cb9b9a:
	.byte	0                               ; 0x0
	.size	__hip_cuid_47b5bcf188cb9b9a, 1

	.ident	"AMD clang version 19.0.0git (https://github.com/RadeonOpenCompute/llvm-project roc-6.4.0 25133 c7fe45cf4b819c5991fe208aaa96edf142730f1d)"
	.section	".note.GNU-stack","",@progbits
	.addrsig
	.addrsig_sym __hip_cuid_47b5bcf188cb9b9a
	.amdgpu_metadata
---
amdhsa.kernels:
  - .args:
      - .actual_access:  read_only
        .address_space:  global
        .offset:         0
        .size:           8
        .value_kind:     global_buffer
      - .offset:         8
        .size:           8
        .value_kind:     by_value
      - .actual_access:  read_only
        .address_space:  global
        .offset:         16
        .size:           8
        .value_kind:     global_buffer
      - .actual_access:  read_only
        .address_space:  global
        .offset:         24
        .size:           8
        .value_kind:     global_buffer
      - .actual_access:  read_only
        .address_space:  global
        .offset:         32
        .size:           8
        .value_kind:     global_buffer
      - .offset:         40
        .size:           8
        .value_kind:     by_value
      - .actual_access:  read_only
        .address_space:  global
        .offset:         48
        .size:           8
        .value_kind:     global_buffer
      - .actual_access:  read_only
        .address_space:  global
        .offset:         56
        .size:           8
        .value_kind:     global_buffer
      - .offset:         64
        .size:           4
        .value_kind:     by_value
      - .actual_access:  read_only
        .address_space:  global
        .offset:         72
        .size:           8
        .value_kind:     global_buffer
      - .actual_access:  read_only
        .address_space:  global
        .offset:         80
        .size:           8
        .value_kind:     global_buffer
      - .actual_access:  read_only
        .address_space:  global
        .offset:         88
        .size:           8
        .value_kind:     global_buffer
      - .actual_access:  write_only
        .address_space:  global
        .offset:         96
        .size:           8
        .value_kind:     global_buffer
    .group_segment_fixed_size: 0
    .kernarg_segment_align: 8
    .kernarg_segment_size: 104
    .language:       OpenCL C
    .language_version:
      - 2
      - 0
    .max_flat_workgroup_size: 128
    .name:           fft_rtc_fwd_len96_factors_6_16_wgs_128_tpt_16_dp_op_CI_CI_unitstride_sbrr_dirReg
    .private_segment_fixed_size: 0
    .sgpr_count:     29
    .sgpr_spill_count: 0
    .symbol:         fft_rtc_fwd_len96_factors_6_16_wgs_128_tpt_16_dp_op_CI_CI_unitstride_sbrr_dirReg.kd
    .uniform_work_group_size: 1
    .uses_dynamic_stack: false
    .vgpr_count:     107
    .vgpr_spill_count: 0
    .wavefront_size: 32
    .workgroup_processor_mode: 1
amdhsa.target:   amdgcn-amd-amdhsa--gfx1030
amdhsa.version:
  - 1
  - 2
...

	.end_amdgpu_metadata
